;; amdgpu-corpus repo=ROCm/rocFFT kind=compiled arch=gfx1030 opt=O3
	.text
	.amdgcn_target "amdgcn-amd-amdhsa--gfx1030"
	.amdhsa_code_object_version 6
	.protected	fft_rtc_fwd_len936_factors_2_2_13_2_3_3_wgs_234_tpt_78_halfLds_sp_ip_CI_unitstride_sbrr_C2R_dirReg ; -- Begin function fft_rtc_fwd_len936_factors_2_2_13_2_3_3_wgs_234_tpt_78_halfLds_sp_ip_CI_unitstride_sbrr_C2R_dirReg
	.globl	fft_rtc_fwd_len936_factors_2_2_13_2_3_3_wgs_234_tpt_78_halfLds_sp_ip_CI_unitstride_sbrr_C2R_dirReg
	.p2align	8
	.type	fft_rtc_fwd_len936_factors_2_2_13_2_3_3_wgs_234_tpt_78_halfLds_sp_ip_CI_unitstride_sbrr_C2R_dirReg,@function
fft_rtc_fwd_len936_factors_2_2_13_2_3_3_wgs_234_tpt_78_halfLds_sp_ip_CI_unitstride_sbrr_C2R_dirReg: ; @fft_rtc_fwd_len936_factors_2_2_13_2_3_3_wgs_234_tpt_78_halfLds_sp_ip_CI_unitstride_sbrr_C2R_dirReg
; %bb.0:
	s_load_dwordx4 s[8:11], s[4:5], 0x0
	v_mul_u32_u24_e32 v1, 0x349, v0
	s_clause 0x1
	s_load_dwordx2 s[2:3], s[4:5], 0x50
	s_load_dwordx2 s[12:13], s[4:5], 0x18
	v_mov_b32_e32 v5, 0
	v_mov_b32_e32 v3, 0
	;; [unrolled: 1-line block ×3, first 2 shown]
	v_lshrrev_b32_e32 v1, 16, v1
	v_mad_u64_u32 v[1:2], null, s6, 3, v[1:2]
	v_mov_b32_e32 v2, v5
	v_mov_b32_e32 v10, v2
	;; [unrolled: 1-line block ×3, first 2 shown]
	s_waitcnt lgkmcnt(0)
	v_cmp_lt_u64_e64 s0, s[10:11], 2
	s_and_b32 vcc_lo, exec_lo, s0
	s_cbranch_vccnz .LBB0_8
; %bb.1:
	s_load_dwordx2 s[0:1], s[4:5], 0x10
	v_mov_b32_e32 v3, 0
	v_mov_b32_e32 v8, v2
	s_add_u32 s6, s12, 8
	v_mov_b32_e32 v4, 0
	v_mov_b32_e32 v7, v1
	s_addc_u32 s7, s13, 0
	s_mov_b64 s[16:17], 1
	s_waitcnt lgkmcnt(0)
	s_add_u32 s14, s0, 8
	s_addc_u32 s15, s1, 0
.LBB0_2:                                ; =>This Inner Loop Header: Depth=1
	s_load_dwordx2 s[18:19], s[14:15], 0x0
                                        ; implicit-def: $vgpr9_vgpr10
	s_mov_b32 s0, exec_lo
	s_waitcnt lgkmcnt(0)
	v_or_b32_e32 v6, s19, v8
	v_cmpx_ne_u64_e32 0, v[5:6]
	s_xor_b32 s1, exec_lo, s0
	s_cbranch_execz .LBB0_4
; %bb.3:                                ;   in Loop: Header=BB0_2 Depth=1
	v_cvt_f32_u32_e32 v2, s18
	v_cvt_f32_u32_e32 v6, s19
	s_sub_u32 s0, 0, s18
	s_subb_u32 s20, 0, s19
	v_fmac_f32_e32 v2, 0x4f800000, v6
	v_rcp_f32_e32 v2, v2
	v_mul_f32_e32 v2, 0x5f7ffffc, v2
	v_mul_f32_e32 v6, 0x2f800000, v2
	v_trunc_f32_e32 v6, v6
	v_fmac_f32_e32 v2, 0xcf800000, v6
	v_cvt_u32_f32_e32 v6, v6
	v_cvt_u32_f32_e32 v2, v2
	v_mul_lo_u32 v9, s0, v6
	v_mul_hi_u32 v10, s0, v2
	v_mul_lo_u32 v11, s20, v2
	v_add_nc_u32_e32 v9, v10, v9
	v_mul_lo_u32 v10, s0, v2
	v_add_nc_u32_e32 v9, v9, v11
	v_mul_hi_u32 v11, v2, v10
	v_mul_lo_u32 v12, v2, v9
	v_mul_hi_u32 v13, v2, v9
	v_mul_hi_u32 v14, v6, v10
	v_mul_lo_u32 v10, v6, v10
	v_mul_hi_u32 v15, v6, v9
	v_mul_lo_u32 v9, v6, v9
	v_add_co_u32 v11, vcc_lo, v11, v12
	v_add_co_ci_u32_e32 v12, vcc_lo, 0, v13, vcc_lo
	v_add_co_u32 v10, vcc_lo, v11, v10
	v_add_co_ci_u32_e32 v10, vcc_lo, v12, v14, vcc_lo
	v_add_co_ci_u32_e32 v11, vcc_lo, 0, v15, vcc_lo
	v_add_co_u32 v9, vcc_lo, v10, v9
	v_add_co_ci_u32_e32 v10, vcc_lo, 0, v11, vcc_lo
	v_add_co_u32 v2, vcc_lo, v2, v9
	v_add_co_ci_u32_e32 v6, vcc_lo, v6, v10, vcc_lo
	v_mul_hi_u32 v9, s0, v2
	v_mul_lo_u32 v11, s20, v2
	v_mul_lo_u32 v10, s0, v6
	v_add_nc_u32_e32 v9, v9, v10
	v_mul_lo_u32 v10, s0, v2
	v_add_nc_u32_e32 v9, v9, v11
	v_mul_hi_u32 v11, v2, v10
	v_mul_lo_u32 v12, v2, v9
	v_mul_hi_u32 v13, v2, v9
	v_mul_hi_u32 v14, v6, v10
	v_mul_lo_u32 v10, v6, v10
	v_mul_hi_u32 v15, v6, v9
	v_mul_lo_u32 v9, v6, v9
	v_add_co_u32 v11, vcc_lo, v11, v12
	v_add_co_ci_u32_e32 v12, vcc_lo, 0, v13, vcc_lo
	v_add_co_u32 v10, vcc_lo, v11, v10
	v_add_co_ci_u32_e32 v10, vcc_lo, v12, v14, vcc_lo
	v_add_co_ci_u32_e32 v11, vcc_lo, 0, v15, vcc_lo
	v_add_co_u32 v9, vcc_lo, v10, v9
	v_add_co_ci_u32_e32 v10, vcc_lo, 0, v11, vcc_lo
	v_add_co_u32 v2, vcc_lo, v2, v9
	v_add_co_ci_u32_e32 v6, vcc_lo, v6, v10, vcc_lo
	v_mul_hi_u32 v15, v7, v2
	v_mad_u64_u32 v[11:12], null, v8, v2, 0
	v_mad_u64_u32 v[9:10], null, v7, v6, 0
	v_mad_u64_u32 v[13:14], null, v8, v6, 0
	v_add_co_u32 v2, vcc_lo, v15, v9
	v_add_co_ci_u32_e32 v6, vcc_lo, 0, v10, vcc_lo
	v_add_co_u32 v2, vcc_lo, v2, v11
	v_add_co_ci_u32_e32 v2, vcc_lo, v6, v12, vcc_lo
	v_add_co_ci_u32_e32 v6, vcc_lo, 0, v14, vcc_lo
	v_add_co_u32 v2, vcc_lo, v2, v13
	v_add_co_ci_u32_e32 v6, vcc_lo, 0, v6, vcc_lo
	v_mul_lo_u32 v11, s19, v2
	v_mad_u64_u32 v[9:10], null, s18, v2, 0
	v_mul_lo_u32 v12, s18, v6
	v_sub_co_u32 v9, vcc_lo, v7, v9
	v_add3_u32 v10, v10, v12, v11
	v_sub_nc_u32_e32 v11, v8, v10
	v_subrev_co_ci_u32_e64 v11, s0, s19, v11, vcc_lo
	v_add_co_u32 v12, s0, v2, 2
	v_add_co_ci_u32_e64 v13, s0, 0, v6, s0
	v_sub_co_u32 v14, s0, v9, s18
	v_sub_co_ci_u32_e32 v10, vcc_lo, v8, v10, vcc_lo
	v_subrev_co_ci_u32_e64 v11, s0, 0, v11, s0
	v_cmp_le_u32_e32 vcc_lo, s18, v14
	v_cmp_eq_u32_e64 s0, s19, v10
	v_cndmask_b32_e64 v14, 0, -1, vcc_lo
	v_cmp_le_u32_e32 vcc_lo, s19, v11
	v_cndmask_b32_e64 v15, 0, -1, vcc_lo
	v_cmp_le_u32_e32 vcc_lo, s18, v9
	;; [unrolled: 2-line block ×3, first 2 shown]
	v_cndmask_b32_e64 v16, 0, -1, vcc_lo
	v_cmp_eq_u32_e32 vcc_lo, s19, v11
	v_cndmask_b32_e64 v9, v16, v9, s0
	v_cndmask_b32_e32 v11, v15, v14, vcc_lo
	v_add_co_u32 v14, vcc_lo, v2, 1
	v_add_co_ci_u32_e32 v15, vcc_lo, 0, v6, vcc_lo
	v_cmp_ne_u32_e32 vcc_lo, 0, v11
	v_cndmask_b32_e32 v10, v15, v13, vcc_lo
	v_cndmask_b32_e32 v11, v14, v12, vcc_lo
	v_cmp_ne_u32_e32 vcc_lo, 0, v9
	v_cndmask_b32_e32 v10, v6, v10, vcc_lo
	v_cndmask_b32_e32 v9, v2, v11, vcc_lo
.LBB0_4:                                ;   in Loop: Header=BB0_2 Depth=1
	s_andn2_saveexec_b32 s0, s1
	s_cbranch_execz .LBB0_6
; %bb.5:                                ;   in Loop: Header=BB0_2 Depth=1
	v_cvt_f32_u32_e32 v2, s18
	s_sub_i32 s1, 0, s18
	v_rcp_iflag_f32_e32 v2, v2
	v_mul_f32_e32 v2, 0x4f7ffffe, v2
	v_cvt_u32_f32_e32 v2, v2
	v_mul_lo_u32 v6, s1, v2
	v_mul_hi_u32 v6, v2, v6
	v_add_nc_u32_e32 v2, v2, v6
	v_mul_hi_u32 v2, v7, v2
	v_mul_lo_u32 v6, v2, s18
	v_add_nc_u32_e32 v9, 1, v2
	v_sub_nc_u32_e32 v6, v7, v6
	v_subrev_nc_u32_e32 v10, s18, v6
	v_cmp_le_u32_e32 vcc_lo, s18, v6
	v_cndmask_b32_e32 v6, v6, v10, vcc_lo
	v_cndmask_b32_e32 v2, v2, v9, vcc_lo
	v_mov_b32_e32 v10, v5
	v_cmp_le_u32_e32 vcc_lo, s18, v6
	v_add_nc_u32_e32 v9, 1, v2
	v_cndmask_b32_e32 v9, v2, v9, vcc_lo
.LBB0_6:                                ;   in Loop: Header=BB0_2 Depth=1
	s_or_b32 exec_lo, exec_lo, s0
	s_load_dwordx2 s[0:1], s[6:7], 0x0
	v_mul_lo_u32 v2, v10, s18
	v_mul_lo_u32 v6, v9, s19
	v_mad_u64_u32 v[11:12], null, v9, s18, 0
	s_add_u32 s16, s16, 1
	s_addc_u32 s17, s17, 0
	s_add_u32 s6, s6, 8
	s_addc_u32 s7, s7, 0
	;; [unrolled: 2-line block ×3, first 2 shown]
	v_add3_u32 v2, v12, v6, v2
	v_sub_co_u32 v6, vcc_lo, v7, v11
	v_sub_co_ci_u32_e32 v2, vcc_lo, v8, v2, vcc_lo
	s_waitcnt lgkmcnt(0)
	v_mul_lo_u32 v7, s1, v6
	v_mul_lo_u32 v2, s0, v2
	v_mad_u64_u32 v[3:4], null, s0, v6, v[3:4]
	v_cmp_ge_u64_e64 s0, s[16:17], s[10:11]
	s_and_b32 vcc_lo, exec_lo, s0
	v_add3_u32 v4, v7, v4, v2
	s_cbranch_vccnz .LBB0_8
; %bb.7:                                ;   in Loop: Header=BB0_2 Depth=1
	v_mov_b32_e32 v7, v9
	v_mov_b32_e32 v8, v10
	s_branch .LBB0_2
.LBB0_8:
	s_lshl_b64 s[0:1], s[10:11], 3
	v_mul_hi_u32 v2, 0xaaaaaaab, v1
	s_add_u32 s0, s12, s0
	s_addc_u32 s1, s13, s1
	s_load_dwordx2 s[4:5], s[4:5], 0x20
	s_load_dwordx2 s[0:1], s[0:1], 0x0
	v_mul_hi_u32 v5, 0x3483484, v0
	v_lshrrev_b32_e32 v2, 1, v2
	v_lshl_add_u32 v6, v2, 1, v2
	v_sub_nc_u32_e32 v1, v1, v6
	s_waitcnt lgkmcnt(0)
	v_cmp_gt_u64_e32 vcc_lo, s[4:5], v[9:10]
	v_mul_lo_u32 v7, s0, v10
	v_mul_lo_u32 v8, s1, v9
	v_mad_u64_u32 v[2:3], null, s0, v9, v[3:4]
	v_mul_u32_u24_e32 v4, 0x4e, v5
	v_mul_u32_u24_e32 v1, 0x3a9, v1
	v_sub_nc_u32_e32 v24, v0, v4
	v_add3_u32 v3, v8, v3, v7
	v_lshlrev_b32_e32 v38, 3, v1
	v_lshlrev_b64 v[26:27], 3, v[2:3]
	s_and_saveexec_b32 s1, vcc_lo
	s_cbranch_execz .LBB0_12
; %bb.9:
	v_mov_b32_e32 v25, 0
	v_add_co_u32 v0, s0, s2, v26
	v_add_co_ci_u32_e64 v2, s0, s3, v27, s0
	v_lshlrev_b64 v[3:4], 3, v[24:25]
	s_mov_b32 s4, exec_lo
	v_add_co_u32 v3, s0, v0, v3
	v_add_co_ci_u32_e64 v4, s0, v2, v4, s0
	s_clause 0x3
	global_load_dwordx2 v[5:6], v[3:4], off
	global_load_dwordx2 v[7:8], v[3:4], off offset:624
	global_load_dwordx2 v[9:10], v[3:4], off offset:1248
	;; [unrolled: 1-line block ×3, first 2 shown]
	v_add_co_u32 v13, s0, 0x800, v3
	v_add_co_ci_u32_e64 v14, s0, 0, v4, s0
	v_add_co_u32 v15, s0, 0x1000, v3
	v_add_co_ci_u32_e64 v16, s0, 0, v4, s0
	;; [unrolled: 2-line block ×3, first 2 shown]
	s_clause 0x7
	global_load_dwordx2 v[17:18], v[13:14], off offset:448
	global_load_dwordx2 v[19:20], v[13:14], off offset:1072
	;; [unrolled: 1-line block ×8, first 2 shown]
	v_lshlrev_b32_e32 v3, 3, v24
	v_add3_u32 v3, 0, v38, v3
	v_add_nc_u32_e32 v4, 0x800, v3
	v_add_nc_u32_e32 v23, 0xc00, v3
	;; [unrolled: 1-line block ×4, first 2 shown]
	s_waitcnt vmcnt(10)
	ds_write2_b64 v3, v[5:6], v[7:8] offset1:78
	s_waitcnt vmcnt(8)
	ds_write2_b64 v3, v[9:10], v[11:12] offset0:156 offset1:234
	s_waitcnt vmcnt(6)
	ds_write2_b64 v4, v[17:18], v[19:20] offset0:56 offset1:134
	;; [unrolled: 2-line block ×5, first 2 shown]
	v_cmpx_eq_u32_e32 0x4d, v24
	s_cbranch_execz .LBB0_11
; %bb.10:
	v_add_co_u32 v4, s0, 0x1800, v0
	v_add_co_ci_u32_e64 v5, s0, 0, v2, s0
	v_mov_b32_e32 v24, 0x4d
	global_load_dwordx2 v[4:5], v[4:5], off offset:1344
	s_waitcnt vmcnt(0)
	ds_write_b64 v3, v[4:5] offset:6872
.LBB0_11:
	s_or_b32 exec_lo, exec_lo, s4
.LBB0_12:
	s_or_b32 exec_lo, exec_lo, s1
	v_lshl_add_u32 v36, v1, 3, 0
	v_lshlrev_b32_e32 v4, 3, v24
	s_waitcnt lgkmcnt(0)
	s_barrier
	buffer_gl0_inv
	s_add_u32 s1, s8, 0x1d30
	v_add_nc_u32_e32 v37, v36, v4
	v_sub_nc_u32_e32 v5, v36, v4
	s_addc_u32 s4, s9, 0
	s_mov_b32 s5, exec_lo
	ds_read_b32 v6, v37
	ds_read_b32 v7, v5 offset:7488
                                        ; implicit-def: $vgpr2_vgpr3
	s_waitcnt lgkmcnt(0)
	v_add_f32_e32 v0, v7, v6
	v_sub_f32_e32 v1, v6, v7
	v_cmpx_ne_u32_e32 0, v24
	s_xor_b32 s5, exec_lo, s5
	s_cbranch_execz .LBB0_14
; %bb.13:
	v_mov_b32_e32 v25, 0
	v_add_f32_e32 v8, v7, v6
	v_sub_f32_e32 v9, v6, v7
	v_lshlrev_b64 v[0:1], 3, v[24:25]
	v_add_co_u32 v0, s0, s1, v0
	v_add_co_ci_u32_e64 v1, s0, s4, v1, s0
	global_load_dwordx2 v[2:3], v[0:1], off
	ds_read_b32 v0, v5 offset:7492
	ds_read_b32 v1, v37 offset:4
	s_waitcnt lgkmcnt(0)
	v_add_f32_e32 v10, v0, v1
	v_sub_f32_e32 v0, v1, v0
	s_waitcnt vmcnt(0)
	v_fma_f32 v6, -v9, v3, v8
	v_fma_f32 v7, v10, v3, -v0
	v_fma_f32 v11, v9, v3, v8
	v_fma_f32 v1, v10, v3, v0
	v_fmac_f32_e32 v6, v2, v10
	v_fmac_f32_e32 v7, v9, v2
	v_fma_f32 v0, -v2, v10, v11
	v_fmac_f32_e32 v1, v9, v2
	v_mov_b32_e32 v2, v24
	v_mov_b32_e32 v3, v25
	ds_write_b64 v5, v[6:7] offset:7488
.LBB0_14:
	s_andn2_saveexec_b32 s0, s5
	s_cbranch_execz .LBB0_16
; %bb.15:
	ds_read_b64 v[2:3], v36 offset:3744
	s_waitcnt lgkmcnt(0)
	v_add_f32_e32 v6, v2, v2
	v_mul_f32_e32 v7, -2.0, v3
	v_mov_b32_e32 v2, 0
	v_mov_b32_e32 v3, 0
	ds_write_b64 v36, v[6:7] offset:3744
.LBB0_16:
	s_or_b32 exec_lo, exec_lo, s0
	v_lshlrev_b64 v[2:3], 3, v[2:3]
	v_add_nc_u32_e32 v39, 0x4e, v24
	v_add_nc_u32_e32 v31, 0x9c, v24
	;; [unrolled: 1-line block ×5, first 2 shown]
	v_add_co_u32 v2, s0, s1, v2
	v_add_co_ci_u32_e64 v3, s0, s4, v3, s0
	v_and_b32_e32 v21, 1, v24
	v_lshlrev_b32_e32 v28, 4, v39
	v_lshlrev_b32_e32 v30, 4, v31
	s_clause 0x2
	global_load_dwordx2 v[6:7], v[2:3], off offset:624
	global_load_dwordx2 v[8:9], v[2:3], off offset:1248
	;; [unrolled: 1-line block ×3, first 2 shown]
	v_add_co_u32 v2, s0, 0x800, v2
	v_add_co_ci_u32_e64 v3, s0, 0, v3, s0
	v_lshlrev_b32_e32 v44, 4, v29
	v_lshlrev_b32_e32 v45, 4, v41
	s_clause 0x1
	global_load_dwordx2 v[12:13], v[2:3], off offset:448
	global_load_dwordx2 v[2:3], v[2:3], off offset:1072
	ds_write_b64 v37, v[0:1]
	ds_read_b64 v[0:1], v37 offset:624
	ds_read_b64 v[14:15], v5 offset:6864
	v_lshlrev_b32_e32 v46, 4, v40
	v_lshlrev_b32_e32 v47, 3, v21
	v_add3_u32 v28, 0, v28, v38
	v_add3_u32 v30, 0, v30, v38
	;; [unrolled: 1-line block ×5, first 2 shown]
	v_cmp_gt_u32_e64 s0, 0x48, v24
	s_waitcnt lgkmcnt(0)
	v_add_f32_e32 v16, v0, v14
	v_add_f32_e32 v17, v15, v1
	v_sub_f32_e32 v18, v0, v14
	v_sub_f32_e32 v0, v1, v15
	s_waitcnt vmcnt(4)
	v_fma_f32 v19, v18, v7, v16
	v_fma_f32 v1, v17, v7, v0
	v_fma_f32 v14, -v18, v7, v16
	v_fma_f32 v15, v17, v7, -v0
	v_fma_f32 v0, -v6, v17, v19
	v_fmac_f32_e32 v1, v18, v6
	v_fmac_f32_e32 v14, v6, v17
	v_fmac_f32_e32 v15, v18, v6
	ds_write_b64 v37, v[0:1] offset:624
	ds_write_b64 v5, v[14:15] offset:6864
	ds_read_b64 v[0:1], v37 offset:1248
	ds_read_b64 v[6:7], v5 offset:6240
	s_waitcnt lgkmcnt(0)
	v_add_f32_e32 v14, v0, v6
	v_add_f32_e32 v15, v7, v1
	v_sub_f32_e32 v16, v0, v6
	v_sub_f32_e32 v0, v1, v7
	s_waitcnt vmcnt(3)
	v_fma_f32 v17, v16, v9, v14
	v_fma_f32 v1, v15, v9, v0
	v_fma_f32 v6, -v16, v9, v14
	v_fma_f32 v7, v15, v9, -v0
	v_fma_f32 v0, -v8, v15, v17
	v_fmac_f32_e32 v1, v16, v8
	v_fmac_f32_e32 v6, v8, v15
	v_fmac_f32_e32 v7, v16, v8
	ds_write_b64 v37, v[0:1] offset:1248
	ds_write_b64 v5, v[6:7] offset:6240
	ds_read_b64 v[0:1], v37 offset:1872
	ds_read_b64 v[6:7], v5 offset:5616
	;; [unrolled: 18-line block ×3, first 2 shown]
	s_waitcnt lgkmcnt(0)
	v_add_f32_e32 v8, v0, v6
	v_add_f32_e32 v9, v7, v1
	v_sub_f32_e32 v10, v0, v6
	v_sub_f32_e32 v0, v1, v7
	s_waitcnt vmcnt(1)
	v_fma_f32 v11, v10, v13, v8
	v_fma_f32 v1, v9, v13, v0
	v_fma_f32 v6, -v10, v13, v8
	v_fma_f32 v7, v9, v13, -v0
	v_add_nc_u32_e32 v8, 0, v4
	v_fma_f32 v0, -v12, v9, v11
	v_fmac_f32_e32 v1, v10, v12
	v_fmac_f32_e32 v6, v12, v9
	;; [unrolled: 1-line block ×3, first 2 shown]
	ds_write_b64 v37, v[0:1] offset:2496
	ds_write_b64 v5, v[6:7] offset:4992
	ds_read_b64 v[0:1], v37 offset:3120
	ds_read_b64 v[6:7], v5 offset:4368
	v_add_nc_u32_e32 v25, v8, v38
	v_add_nc_u32_e32 v22, 0x800, v25
	;; [unrolled: 1-line block ×6, first 2 shown]
	s_waitcnt lgkmcnt(0)
	v_add_f32_e32 v9, v0, v6
	v_add_f32_e32 v10, v7, v1
	v_sub_f32_e32 v11, v0, v6
	v_sub_f32_e32 v0, v1, v7
	s_waitcnt vmcnt(0)
	v_fma_f32 v8, v11, v3, v9
	v_fma_f32 v1, v10, v3, v0
	v_fma_f32 v6, -v11, v3, v9
	v_fma_f32 v7, v10, v3, -v0
	v_fma_f32 v0, -v2, v10, v8
	v_fmac_f32_e32 v1, v11, v2
	v_fmac_f32_e32 v6, v2, v10
	;; [unrolled: 1-line block ×3, first 2 shown]
	ds_write_b64 v37, v[0:1] offset:3120
	ds_write_b64 v5, v[6:7] offset:4368
	s_waitcnt lgkmcnt(0)
	s_barrier
	buffer_gl0_inv
	s_barrier
	buffer_gl0_inv
	ds_read2_b64 v[0:3], v22 offset0:134 offset1:212
	ds_read_b64 v[32:33], v37
	ds_read2_b64 v[5:8], v25 offset0:78 offset1:156
	ds_read2_b64 v[9:12], v23 offset0:34 offset1:112
	;; [unrolled: 1-line block ×4, first 2 shown]
	ds_read_b64 v[34:35], v25 offset:6864
	s_waitcnt lgkmcnt(0)
	s_barrier
	buffer_gl0_inv
	v_sub_f32_e32 v2, v32, v2
	v_sub_f32_e32 v3, v33, v3
	;; [unrolled: 1-line block ×12, first 2 shown]
	v_fma_f32 v32, v32, 2.0, -v2
	v_fma_f32 v33, v33, 2.0, -v3
	;; [unrolled: 1-line block ×12, first 2 shown]
	ds_write2_b64 v48, v[32:33], v[2:3] offset1:1
	ds_write2_b64 v28, v[4:5], v[9:10] offset1:1
	;; [unrolled: 1-line block ×6, first 2 shown]
	s_waitcnt lgkmcnt(0)
	s_barrier
	buffer_gl0_inv
	global_load_dwordx2 v[8:9], v47, s[8:9]
	v_lshlrev_b32_e32 v33, 1, v24
	v_lshlrev_b32_e32 v28, 1, v39
	;; [unrolled: 1-line block ×5, first 2 shown]
	v_and_or_b32 v0, 0xfc, v33, v21
	v_lshlrev_b32_e32 v2, 1, v40
	v_and_or_b32 v3, 0x1fc, v28, v21
	v_and_or_b32 v4, 0x3fc, v32, v21
	;; [unrolled: 1-line block ×3, first 2 shown]
	v_lshlrev_b32_e32 v0, 3, v0
	v_and_or_b32 v10, 0x7fc, v2, v21
	v_and_or_b32 v6, 0x3fc, v30, v21
	v_lshlrev_b32_e32 v11, 3, v3
	ds_read2_b64 v[18:21], v22 offset0:134 offset1:212
	v_add3_u32 v51, 0, v0, v38
	ds_read2_b64 v[0:3], v23 offset0:34 offset1:112
	v_lshlrev_b32_e32 v12, 3, v4
	v_lshlrev_b32_e32 v13, 3, v6
	;; [unrolled: 1-line block ×3, first 2 shown]
	ds_read2_b64 v[4:7], v43 offset0:62 offset1:140
	v_lshlrev_b32_e32 v15, 3, v10
	v_add3_u32 v52, 0, v11, v38
	ds_read_b64 v[34:35], v37
	ds_read_b64 v[10:11], v25 offset:6864
	ds_read2_b64 v[43:46], v25 offset0:78 offset1:156
	ds_read2_b64 v[47:50], v42 offset0:106 offset1:184
	v_add3_u32 v53, 0, v12, v38
	v_add3_u32 v54, 0, v13, v38
	;; [unrolled: 1-line block ×4, first 2 shown]
	s_waitcnt vmcnt(0) lgkmcnt(0)
	s_barrier
	buffer_gl0_inv
	v_mul_f32_e32 v12, v9, v21
	v_mul_f32_e32 v14, v9, v20
	;; [unrolled: 1-line block ×12, first 2 shown]
	v_fma_f32 v0, v8, v0, -v13
	v_fmac_f32_e32 v15, v8, v1
	v_fma_f32 v1, v8, v2, -v16
	v_fmac_f32_e32 v17, v8, v3
	v_fma_f32 v2, v8, v20, -v12
	v_fmac_f32_e32 v14, v8, v21
	v_fma_f32 v3, v8, v4, -v57
	v_fmac_f32_e32 v58, v8, v5
	v_fma_f32 v6, v8, v6, -v59
	v_fmac_f32_e32 v60, v8, v7
	v_fma_f32 v7, v8, v10, -v61
	v_fmac_f32_e32 v11, v9, v10
	v_sub_f32_e32 v12, v43, v0
	v_sub_f32_e32 v13, v44, v15
	;; [unrolled: 1-line block ×12, first 2 shown]
	v_fma_f32 v10, v43, 2.0, -v12
	v_fma_f32 v11, v44, 2.0, -v13
	;; [unrolled: 1-line block ×12, first 2 shown]
	ds_write2_b64 v51, v[34:35], v[8:9] offset1:2
	ds_write2_b64 v52, v[10:11], v[12:13] offset1:2
	;; [unrolled: 1-line block ×6, first 2 shown]
	s_waitcnt lgkmcnt(0)
	s_barrier
	buffer_gl0_inv
	s_and_saveexec_b32 s1, s0
	s_cbranch_execz .LBB0_18
; %bb.17:
	v_add_nc_u32_e32 v4, 0xc00, v25
	v_add_nc_u32_e32 v20, 0x1800, v25
	ds_read_b64 v[34:35], v37
	ds_read2_b64 v[8:11], v25 offset0:72 offset1:144
	ds_read2_b64 v[12:15], v42 offset0:88 offset1:160
	;; [unrolled: 1-line block ×6, first 2 shown]
.LBB0_18:
	s_or_b32 exec_lo, exec_lo, s1
	s_waitcnt lgkmcnt(0)
	s_barrier
	buffer_gl0_inv
	s_and_saveexec_b32 s1, s0
	s_cbranch_execz .LBB0_20
; %bb.19:
	v_and_b32_e32 v42, 3, v24
	v_mul_u32_u24_e32 v43, 12, v42
	v_lshlrev_b32_e32 v43, 3, v43
	s_clause 0x5
	global_load_dwordx4 v[53:56], v43, s[8:9] offset:96
	global_load_dwordx4 v[57:60], v43, s[8:9] offset:16
	global_load_dwordx4 v[63:66], v43, s[8:9] offset:80
	global_load_dwordx4 v[68:71], v43, s[8:9] offset:32
	global_load_dwordx4 v[72:75], v43, s[8:9] offset:64
	global_load_dwordx4 v[76:79], v43, s[8:9] offset:48
	s_waitcnt vmcnt(5)
	v_mul_f32_e32 v43, v22, v56
	s_waitcnt vmcnt(4)
	v_mul_f32_e32 v62, v8, v58
	v_mul_f32_e32 v58, v9, v58
	;; [unrolled: 1-line block ×5, first 2 shown]
	v_fmac_f32_e32 v62, v9, v57
	v_fmac_f32_e32 v43, v23, v55
	v_mul_f32_e32 v60, v11, v60
	v_mul_f32_e32 v54, v21, v54
	s_waitcnt vmcnt(3)
	v_mul_f32_e32 v45, v18, v66
	s_waitcnt vmcnt(2)
	v_mul_f32_e32 v52, v12, v69
	v_mul_f32_e32 v69, v13, v69
	;; [unrolled: 1-line block ×6, first 2 shown]
	s_waitcnt vmcnt(1)
	v_mul_f32_e32 v48, v4, v73
	v_mul_f32_e32 v73, v5, v73
	v_fma_f32 v80, v8, v57, -v58
	v_fmac_f32_e32 v61, v11, v59
	v_fma_f32 v22, v22, v55, -v56
	v_fmac_f32_e32 v44, v21, v53
	v_add_f32_e32 v8, v62, v43
	v_mul_f32_e32 v66, v19, v66
	v_mul_f32_e32 v47, v6, v75
	s_waitcnt vmcnt(0)
	v_mul_f32_e32 v50, v0, v77
	v_mul_f32_e32 v77, v1, v77
	;; [unrolled: 1-line block ×3, first 2 shown]
	v_fma_f32 v67, v10, v59, -v60
	v_fma_f32 v20, v20, v53, -v54
	v_fmac_f32_e32 v52, v13, v68
	v_fma_f32 v54, v12, v68, -v69
	v_fmac_f32_e32 v51, v15, v70
	;; [unrolled: 2-line block ×3, first 2 shown]
	v_fmac_f32_e32 v46, v17, v63
	v_fma_f32 v13, v16, v63, -v64
	v_fma_f32 v15, v4, v72, -v73
	v_sub_f32_e32 v58, v80, v22
	v_add_f32_e32 v4, v61, v44
	v_sub_f32_e32 v63, v62, v43
	v_add_f32_e32 v69, v35, v62
	v_add_f32_e32 v70, v34, v80
	v_mul_f32_e32 v71, 0x3df6dbef, v8
	v_mul_f32_e32 v83, 0xbf3f9e67, v8
	;; [unrolled: 1-line block ×3, first 2 shown]
	v_fma_f32 v12, v18, v65, -v66
	v_fmac_f32_e32 v50, v1, v76
	v_fma_f32 v17, v0, v76, -v77
	v_fma_f32 v14, v6, v74, -v75
	v_fmac_f32_e32 v48, v5, v72
	v_sub_f32_e32 v57, v67, v20
	v_add_f32_e32 v1, v52, v45
	v_add_f32_e32 v0, v51, v46
	;; [unrolled: 1-line block ×4, first 2 shown]
	v_sub_f32_e32 v64, v61, v44
	v_mul_f32_e32 v72, 0xbf788fa5, v4
	v_mul_f32_e32 v73, 0xbf7e222b, v63
	;; [unrolled: 1-line block ×5, first 2 shown]
	v_add_f32_e32 v61, v69, v61
	v_add_f32_e32 v67, v70, v67
	v_fmamk_f32 v129, v58, 0x3f7e222b, v71
	v_fmamk_f32 v131, v58, 0x3f29c268, v83
	v_mul_f32_e32 v79, v3, v79
	v_fmac_f32_e32 v47, v7, v74
	v_fmac_f32_e32 v49, v3, v78
	v_sub_f32_e32 v56, v54, v12
	v_sub_f32_e32 v55, v21, v13
	v_add_f32_e32 v3, v54, v12
	v_sub_f32_e32 v60, v52, v45
	v_mul_f32_e32 v74, 0xbeb58ec6, v1
	v_mul_f32_e32 v75, 0x3f62ad3f, v0
	;; [unrolled: 1-line block ×12, first 2 shown]
	v_fmamk_f32 v130, v6, 0x3df6dbef, v73
	v_fmac_f32_e32 v83, 0xbf29c268, v58
	v_fmac_f32_e32 v71, 0xbf7e222b, v58
	v_fmamk_f32 v58, v57, 0x3e750f2a, v72
	v_add_f32_e32 v52, v61, v52
	v_fmamk_f32 v61, v57, 0xbf7e222b, v84
	v_add_f32_e32 v54, v67, v54
	v_fmamk_f32 v67, v6, 0xbf3f9e67, v85
	v_fmamk_f32 v133, v8, 0xbf788fa5, v95
	v_add_f32_e32 v129, v35, v129
	v_fma_f32 v85, 0xbf3f9e67, v6, -v85
	v_add_f32_e32 v131, v35, v131
	v_sub_f32_e32 v59, v51, v46
	v_mul_f32_e32 v98, 0x3eedf032, v64
	v_mul_f32_e32 v99, 0xbf29c268, v56
	;; [unrolled: 1-line block ×15, first 2 shown]
	v_fmac_f32_e32 v84, 0x3f7e222b, v57
	v_fmac_f32_e32 v72, 0xbe750f2a, v57
	v_fmamk_f32 v57, v5, 0xbf788fa5, v76
	v_fmamk_f32 v132, v5, 0x3df6dbef, v86
	;; [unrolled: 1-line block ×4, first 2 shown]
	v_fmac_f32_e32 v87, 0xbf52af12, v56
	v_fmac_f32_e32 v74, 0x3f6f5d39, v56
	v_fmamk_f32 v56, v55, 0xbeedf032, v75
	v_fmamk_f32 v136, v55, 0xbe750f2a, v89
	v_fmac_f32_e32 v89, 0x3e750f2a, v55
	v_fmac_f32_e32 v75, 0x3eedf032, v55
	v_fmamk_f32 v55, v4, 0x3f62ad3f, v96
	v_add_f32_e32 v51, v52, v51
	v_fma_f32 v52, 0xbf788fa5, v6, -v97
	v_fma_f32 v86, 0x3df6dbef, v5, -v86
	v_add_f32_e32 v130, v34, v130
	v_add_f32_e32 v58, v58, v129
	v_fmamk_f32 v129, v8, 0xbeb58ec6, v107
	v_add_f32_e32 v67, v34, v67
	v_add_f32_e32 v61, v61, v131
	v_fma_f32 v131, 0xbeb58ec6, v6, -v109
	v_add_f32_e32 v133, v35, v133
	v_fma_f32 v73, 0x3df6dbef, v6, -v73
	v_add_f32_e32 v83, v35, v83
	v_add_f32_e32 v85, v34, v85
	;; [unrolled: 1-line block ×3, first 2 shown]
	v_fma_f32 v16, v2, v78, -v79
	v_add_f32_e32 v2, v21, v13
	v_add_f32_e32 v7, v50, v47
	;; [unrolled: 1-line block ×3, first 2 shown]
	v_mul_f32_e32 v66, 0xbf6f5d39, v64
	v_mul_f32_e32 v64, 0xbf52af12, v64
	v_add_f32_e32 v21, v54, v21
	v_fma_f32 v54, 0x3f62ad3f, v5, -v98
	v_add_f32_e32 v57, v57, v130
	v_fmamk_f32 v130, v4, 0xbf3f9e67, v108
	v_add_f32_e32 v67, v132, v67
	v_fma_f32 v132, 0xbf3f9e67, v5, -v110
	v_add_f32_e32 v52, v34, v52
	v_fma_f32 v76, 0xbf788fa5, v5, -v76
	v_add_f32_e32 v55, v55, v133
	v_fmamk_f32 v133, v8, 0x3f116cb1, v111
	v_add_f32_e32 v129, v35, v129
	v_add_f32_e32 v83, v84, v83
	v_fma_f32 v84, 0x3f116cb1, v6, -v68
	v_add_f32_e32 v131, v34, v131
	v_add_f32_e32 v85, v86, v85
	v_fmamk_f32 v86, v8, 0x3f62ad3f, v65
	v_add_f32_e32 v73, v34, v73
	v_add_f32_e32 v71, v72, v71
	v_fma_f32 v72, 0x3f62ad3f, v6, -v63
	v_sub_f32_e32 v18, v17, v14
	v_sub_f32_e32 v23, v50, v47
	;; [unrolled: 1-line block ×3, first 2 shown]
	v_mul_f32_e32 v79, 0x3f116cb1, v7
	v_mul_f32_e32 v81, 0xbf3f9e67, v9
	;; [unrolled: 1-line block ×4, first 2 shown]
	v_add_f32_e32 v52, v54, v52
	v_fmamk_f32 v54, v4, 0xbeb58ec6, v112
	v_add_f32_e32 v129, v130, v129
	v_fma_f32 v130, 0xbeb58ec6, v5, -v66
	v_add_f32_e32 v131, v132, v131
	v_fmamk_f32 v132, v4, 0x3f116cb1, v62
	v_add_f32_e32 v133, v35, v133
	v_add_f32_e32 v84, v34, v84
	;; [unrolled: 1-line block ×3, first 2 shown]
	v_fma_f32 v76, 0x3f116cb1, v5, -v64
	v_add_f32_e32 v86, v35, v86
	v_add_f32_e32 v72, v34, v72
	v_sub_f32_e32 v53, v49, v48
	v_mul_f32_e32 v80, 0xbf52af12, v23
	v_mul_f32_e32 v92, 0x3eedf032, v23
	;; [unrolled: 1-line block ×11, first 2 shown]
	v_add_f32_e32 v54, v54, v133
	v_fmamk_f32 v133, v18, 0x3f52af12, v79
	v_add_f32_e32 v84, v130, v84
	v_fmamk_f32 v130, v18, 0xbeedf032, v91
	v_fmac_f32_e32 v91, 0x3eedf032, v18
	v_fmac_f32_e32 v79, 0xbf52af12, v18
	v_mul_f32_e32 v137, 0xbf29c268, v18
	v_mul_f32_e32 v138, 0xbf29c268, v23
	v_add_f32_e32 v18, v132, v86
	v_fmamk_f32 v23, v19, 0x3f29c268, v81
	v_add_f32_e32 v72, v76, v72
	v_fmamk_f32 v76, v19, 0x3f6f5d39, v93
	v_fmac_f32_e32 v93, 0xbf6f5d39, v19
	v_fmac_f32_e32 v81, 0xbf29c268, v19
	v_mul_f32_e32 v86, 0xbe750f2a, v19
	v_fma_f32 v19, 0xbf788fa5, v8, -v95
	v_fmac_f32_e32 v97, 0xbf788fa5, v6
	v_mul_f32_e32 v77, 0x3f6f5d39, v60
	v_mul_f32_e32 v82, 0xbf29c268, v53
	;; [unrolled: 1-line block ×8, first 2 shown]
	v_fma_f32 v53, 0x3f62ad3f, v4, -v96
	v_fmac_f32_e32 v98, 0x3f62ad3f, v5
	v_add_f32_e32 v19, v35, v19
	v_add_f32_e32 v96, v34, v97
	v_mul_f32_e32 v100, 0xbf29c268, v60
	v_mul_f32_e32 v70, 0x3eedf032, v60
	;; [unrolled: 1-line block ×4, first 2 shown]
	v_fma_f32 v95, 0xbeb58ec6, v8, -v107
	v_fmac_f32_e32 v109, 0xbeb58ec6, v6
	v_add_f32_e32 v19, v53, v19
	v_fmamk_f32 v53, v3, 0xbeb58ec6, v77
	v_add_f32_e32 v96, v98, v96
	v_fmamk_f32 v98, v3, 0x3f116cb1, v88
	v_add_f32_e32 v10, v17, v14
	v_mul_f32_e32 v78, 0x3eedf032, v59
	v_mul_f32_e32 v90, 0x3e750f2a, v59
	;; [unrolled: 1-line block ×6, first 2 shown]
	v_fma_f32 v97, 0xbf3f9e67, v4, -v108
	v_fmac_f32_e32 v110, 0xbf3f9e67, v5
	v_add_f32_e32 v50, v51, v50
	v_fmamk_f32 v51, v1, 0xbf3f9e67, v99
	v_add_f32_e32 v95, v35, v95
	v_add_f32_e32 v107, v34, v109
	;; [unrolled: 1-line block ×3, first 2 shown]
	v_fma_f32 v21, 0xbf3f9e67, v3, -v100
	v_fma_f32 v88, 0x3f116cb1, v3, -v88
	v_add_f32_e32 v53, v53, v57
	v_fma_f32 v57, 0xbf788fa5, v3, -v118
	v_add_f32_e32 v67, v98, v67
	v_fma_f32 v98, 0x3df6dbef, v3, -v60
	v_fmac_f32_e32 v100, 0xbf3f9e67, v3
	v_add_f32_e32 v95, v97, v95
	v_fmamk_f32 v97, v1, 0x3f62ad3f, v69
	v_add_f32_e32 v107, v110, v107
	v_fmamk_f32 v109, v1, 0xbf788fa5, v117
	v_fmamk_f32 v110, v1, 0x3df6dbef, v119
	v_add_f32_e32 v51, v51, v55
	v_add_f32_e32 v21, v21, v52
	;; [unrolled: 1-line block ×3, first 2 shown]
	v_fmamk_f32 v87, v0, 0x3f116cb1, v101
	v_add_f32_e32 v85, v88, v85
	v_fma_f32 v88, 0x3f116cb1, v2, -v102
	v_add_f32_e32 v57, v57, v84
	v_fma_f32 v84, 0xbeb58ec6, v2, -v59
	v_fmac_f32_e32 v102, 0x3f116cb1, v2
	v_add_f32_e32 v72, v98, v72
	v_add_f32_e32 v96, v100, v96
	;; [unrolled: 1-line block ×5, first 2 shown]
	v_fma_f32 v99, 0xbf3f9e67, v1, -v99
	v_fmamk_f32 v55, v2, 0x3f62ad3f, v78
	v_fmamk_f32 v52, v2, 0xbf788fa5, v90
	v_fma_f32 v90, 0xbf788fa5, v2, -v90
	v_add_f32_e32 v97, v97, v129
	v_fmamk_f32 v129, v0, 0x3df6dbef, v113
	v_add_f32_e32 v71, v74, v71
	v_add_f32_e32 v54, v109, v54
	v_fmamk_f32 v109, v0, 0xbeb58ec6, v128
	v_add_f32_e32 v18, v110, v18
	v_fmamk_f32 v50, v7, 0xbeb58ec6, v103
	v_add_f32_e32 v16, v17, v16
	v_fma_f32 v17, 0xbeb58ec6, v10, -v104
	v_add_f32_e32 v51, v87, v51
	v_add_f32_e32 v21, v88, v21
	;; [unrolled: 1-line block ×3, first 2 shown]
	v_fmac_f32_e32 v104, 0xbeb58ec6, v10
	v_add_f32_e32 v72, v84, v72
	v_add_f32_e32 v84, v102, v96
	;; [unrolled: 1-line block ×4, first 2 shown]
	v_fmamk_f32 v99, v10, 0x3f62ad3f, v92
	v_add_f32_e32 v56, v56, v58
	v_add_f32_e32 v53, v55, v53
	v_fma_f32 v55, 0x3df6dbef, v11, -v106
	v_fma_f32 v92, 0x3f62ad3f, v10, -v92
	v_add_f32_e32 v85, v90, v85
	v_add_f32_e32 v97, v129, v97
	v_fmamk_f32 v129, v7, 0xbf3f9e67, v137
	v_add_f32_e32 v71, v75, v71
	v_add_f32_e32 v18, v109, v18
	;; [unrolled: 1-line block ×16, first 2 shown]
	v_fmamk_f32 v110, v10, 0x3f116cb1, v80
	v_add_f32_e32 v61, v136, v61
	v_add_f32_e32 v15, v23, v16
	;; [unrolled: 1-line block ×6, first 2 shown]
	v_fmamk_f32 v74, v0, 0xbf3f9e67, v122
	v_add_f32_e32 v23, v23, v12
	v_add_f32_e32 v46, v21, v44
	v_fmamk_f32 v100, v11, 0xbeb58ec6, v94
	v_add_f32_e32 v17, v76, v53
	v_fma_f32 v94, 0xbeb58ec6, v11, -v94
	v_add_f32_e32 v53, v23, v20
	v_add_f32_e32 v23, v46, v43
	v_fma_f32 v43, 0x3f116cb1, v8, -v111
	v_fmamk_f32 v89, v7, 0x3df6dbef, v124
	v_add_f32_e32 v54, v74, v54
	v_fma_f32 v55, 0xbeb58ec6, v4, -v112
	v_fmac_f32_e32 v68, 0x3f116cb1, v6
	v_add_f32_e32 v43, v35, v43
	v_fma_f32 v8, 0x3f62ad3f, v8, -v65
	v_fmac_f32_e32 v63, 0x3f62ad3f, v6
	v_fma_f32 v108, 0x3f62ad3f, v3, -v70
	v_fmamk_f32 v75, v9, 0x3f62ad3f, v126
	v_fma_f32 v69, 0x3f62ad3f, v1, -v69
	v_add_f32_e32 v54, v89, v54
	v_add_f32_e32 v47, v94, v56
	v_fmac_f32_e32 v70, 0x3f62ad3f, v3
	v_add_f32_e32 v43, v55, v43
	v_fma_f32 v55, 0xbf788fa5, v1, -v117
	v_add_f32_e32 v56, v34, v68
	v_add_f32_e32 v8, v35, v8
	v_fma_f32 v4, 0x3f116cb1, v4, -v62
	v_add_f32_e32 v34, v34, v63
	v_fmac_f32_e32 v64, 0x3f116cb1, v5
	v_add_f32_e32 v108, v108, v131
	v_fma_f32 v131, 0x3df6dbef, v2, -v114
	v_add_f32_e32 v13, v75, v54
	v_add_f32_e32 v22, v53, v22
	;; [unrolled: 1-line block ×3, first 2 shown]
	v_fma_f32 v53, 0x3df6dbef, v0, -v113
	v_add_f32_e32 v54, v70, v107
	v_fmac_f32_e32 v114, 0x3df6dbef, v2
	v_add_f32_e32 v43, v55, v43
	v_fma_f32 v55, 0xbf3f9e67, v0, -v122
	v_fmac_f32_e32 v66, 0xbeb58ec6, v5
	v_add_f32_e32 v4, v4, v8
	v_fma_f32 v1, 0x3df6dbef, v1, -v119
	v_add_f32_e32 v8, v64, v34
	v_lshrrev_b32_e32 v34, 2, v24
	v_fma_f32 v77, 0xbeb58ec6, v3, -v77
	v_fma_f32 v101, 0x3f116cb1, v0, -v101
	v_add_f32_e32 v52, v52, v67
	v_fma_f32 v67, 0xbf788fa5, v10, -v116
	v_add_f32_e32 v46, v53, v46
	;; [unrolled: 2-line block ×3, first 2 shown]
	v_fmac_f32_e32 v116, 0xbf788fa5, v10
	v_add_f32_e32 v43, v55, v43
	v_add_f32_e32 v55, v66, v56
	v_fmac_f32_e32 v118, 0xbf788fa5, v3
	v_fmac_f32_e32 v60, 0x3df6dbef, v3
	v_add_f32_e32 v1, v1, v4
	v_fma_f32 v0, 0xbeb58ec6, v0, -v128
	v_mul_u32_u24_e32 v3, 52, v34
	v_fma_f32 v78, 0x3f62ad3f, v2, -v78
	v_add_f32_e32 v73, v77, v73
	v_fma_f32 v77, 0xbf3f9e67, v2, -v123
	v_add_f32_e32 v108, v131, v108
	v_fma_f32 v131, 0xbf3f9e67, v10, -v138
	v_add_f32_e32 v46, v53, v46
	v_add_f32_e32 v53, v116, v54
	v_fma_f32 v54, 0x3f116cb1, v9, -v120
	v_add_f32_e32 v6, v118, v55
	v_fmac_f32_e32 v123, 0xbf3f9e67, v2
	v_add_f32_e32 v4, v60, v8
	v_fmac_f32_e32 v59, 0xbeb58ec6, v2
	v_add_f32_e32 v0, v0, v1
	v_or_b32_e32 v1, v3, v42
	v_fma_f32 v80, 0x3f116cb1, v10, -v80
	v_fma_f32 v90, 0x3df6dbef, v10, -v125
	v_add_f32_e32 v73, v78, v73
	v_add_f32_e32 v57, v77, v57
	v_fmamk_f32 v134, v7, 0xbf788fa5, v115
	v_fma_f32 v103, 0xbeb58ec6, v7, -v103
	v_add_f32_e32 v19, v101, v19
	v_fmamk_f32 v74, v9, 0xbf788fa5, v86
	v_fma_f32 v77, 0xbf788fa5, v11, -v132
	v_add_f32_e32 v72, v131, v72
	v_add_f32_e32 v54, v54, v46
	v_fma_f32 v46, 0x3df6dbef, v7, -v124
	v_add_f32_e32 v6, v123, v6
	v_fmac_f32_e32 v125, 0x3df6dbef, v10
	v_fma_f32 v3, 0xbf3f9e67, v7, -v137
	v_add_f32_e32 v4, v59, v4
	v_fmac_f32_e32 v138, 0xbf3f9e67, v10
	v_lshlrev_b32_e32 v1, 3, v1
	v_fmamk_f32 v98, v11, 0xbf3f9e67, v82
	v_fma_f32 v82, 0xbf3f9e67, v11, -v82
	v_fma_f32 v78, 0x3f62ad3f, v11, -v127
	v_add_f32_e32 v52, v99, v52
	v_add_f32_e32 v73, v80, v73
	;; [unrolled: 1-line block ×3, first 2 shown]
	v_fmamk_f32 v58, v9, 0x3df6dbef, v105
	v_fmamk_f32 v87, v9, 0x3f116cb1, v120
	v_fma_f32 v88, 0x3f116cb1, v11, -v121
	v_add_f32_e32 v61, v134, v97
	v_add_f32_e32 v67, v67, v108
	v_fma_f32 v105, 0x3df6dbef, v9, -v105
	v_fmac_f32_e32 v106, 0x3df6dbef, v11
	v_add_f32_e32 v80, v103, v19
	v_fmac_f32_e32 v121, 0x3f116cb1, v11
	v_add_f32_e32 v45, v74, v79
	v_add_f32_e32 v44, v77, v72
	;; [unrolled: 1-line block ×3, first 2 shown]
	v_fma_f32 v5, 0x3f62ad3f, v9, -v126
	v_add_f32_e32 v2, v125, v6
	v_fmac_f32_e32 v127, 0x3f62ad3f, v11
	v_add_f32_e32 v3, v3, v0
	v_fma_f32 v6, 0xbf788fa5, v9, -v86
	v_add_f32_e32 v4, v138, v4
	v_fmac_f32_e32 v132, 0xbf788fa5, v11
	v_add3_u32 v7, 0, v1, v38
	v_add_f32_e32 v16, v100, v52
	v_add_f32_e32 v48, v93, v51
	;; [unrolled: 1-line block ×16, first 2 shown]
	ds_write2_b64 v7, v[22:23], v[44:45] offset1:4
	ds_write2_b64 v7, v[12:13], v[51:52] offset0:8 offset1:12
	ds_write2_b64 v7, v[49:50], v[47:48] offset0:16 offset1:20
	ds_write2_b64 v7, v[18:19], v[20:21] offset0:24 offset1:28
	ds_write2_b64 v7, v[16:17], v[53:54] offset0:32 offset1:36
	ds_write2_b64 v7, v[14:15], v[0:1] offset0:40 offset1:44
	ds_write_b64 v7, v[2:3] offset:384
.LBB0_20:
	s_or_b32 exec_lo, exec_lo, s1
	v_and_b32_e32 v2, 0xff, v39
	v_and_b32_e32 v4, 0xff, v31
	v_subrev_nc_u32_e32 v0, 52, v24
	v_cmp_gt_u32_e64 s0, 52, v24
	v_mov_b32_e32 v6, 0x4ec5
	v_mul_lo_u16 v5, 0x4f, v2
	v_mul_lo_u16 v35, 0x4f, v4
	v_mov_b32_e32 v1, 0
	v_cndmask_b32_e64 v0, v0, v24, s0
	v_mul_u32_u24_sdwa v58, v29, v6 dst_sel:DWORD dst_unused:UNUSED_PAD src0_sel:WORD_0 src1_sel:DWORD
	v_lshrrev_b16 v57, 12, v5
	v_lshrrev_b16 v59, 12, v35
	v_mul_u32_u24_sdwa v5, v41, v6 dst_sel:DWORD dst_unused:UNUSED_PAD src0_sel:WORD_0 src1_sel:DWORD
	v_mul_u32_u24_sdwa v6, v40, v6 dst_sel:DWORD dst_unused:UNUSED_PAD src0_sel:WORD_0 src1_sel:DWORD
	v_lshlrev_b64 v[2:3], 3, v[0:1]
	v_mul_lo_u16 v4, v57, 52
	v_mul_lo_u16 v7, v59, 52
	v_lshrrev_b32_e32 v60, 20, v58
	v_lshrrev_b32_e32 v62, 20, v6
	v_mov_b32_e32 v63, 3
	v_sub_nc_u16 v4, v39, v4
	v_sub_nc_u16 v6, v31, v7
	v_lshrrev_b32_e32 v61, 20, v5
	v_add_co_u32 v2, s0, s8, v2
	v_add_co_ci_u32_e64 v3, s0, s9, v3, s0
	v_mul_lo_u16 v5, v60, 52
	v_lshlrev_b32_sdwa v64, v63, v4 dst_sel:DWORD dst_unused:UNUSED_PAD src0_sel:DWORD src1_sel:BYTE_0
	v_lshlrev_b32_sdwa v65, v63, v6 dst_sel:DWORD dst_unused:UNUSED_PAD src0_sel:DWORD src1_sel:BYTE_0
	v_mul_lo_u16 v7, v61, 52
	v_mul_lo_u16 v8, v62, 52
	s_waitcnt lgkmcnt(0)
	s_barrier
	buffer_gl0_inv
	s_clause 0x1
	global_load_dwordx2 v[22:23], v[2:3], off offset:400
	global_load_dwordx2 v[45:46], v65, s[8:9] offset:400
	v_sub_nc_u16 v2, v29, v5
	global_load_dwordx2 v[43:44], v64, s[8:9] offset:400
	v_sub_nc_u16 v3, v41, v7
	v_sub_nc_u16 v4, v40, v8
	v_cmp_lt_u32_e64 s0, 51, v24
	v_lshlrev_b32_sdwa v66, v63, v2 dst_sel:DWORD dst_unused:UNUSED_PAD src0_sel:DWORD src1_sel:WORD_0
	v_add_nc_u32_e32 v2, 0x800, v25
	v_lshlrev_b32_sdwa v67, v63, v3 dst_sel:DWORD dst_unused:UNUSED_PAD src0_sel:DWORD src1_sel:WORD_0
	v_lshlrev_b32_sdwa v68, v63, v4 dst_sel:DWORD dst_unused:UNUSED_PAD src0_sel:DWORD src1_sel:WORD_0
	s_clause 0x2
	global_load_dwordx2 v[47:48], v66, s[8:9] offset:400
	global_load_dwordx2 v[49:50], v67, s[8:9] offset:400
	;; [unrolled: 1-line block ×3, first 2 shown]
	v_cndmask_b32_e64 v69, 0, 0x340, s0
	v_subrev_nc_u32_e32 v40, 26, v24
	v_cmp_gt_u32_e64 s0, 26, v24
	v_add_nc_u32_e32 v3, 0x1000, v25
	v_add_nc_u32_e32 v5, 0x400, v25
	ds_read2_b64 v[6:9], v25 offset0:78 offset1:156
	v_add_nc_u32_e32 v4, 0x1400, v25
	ds_read_b64 v[53:54], v37
	ds_read_b64 v[55:56], v25 offset:6864
	ds_read2_b64 v[10:13], v2 offset0:134 offset1:212
	ds_read2_b64 v[14:17], v3 offset0:34 offset1:112
	;; [unrolled: 1-line block ×3, first 2 shown]
	v_cndmask_b32_e64 v71, v40, v39, s0
	v_mov_b32_e32 v34, v1
	ds_read2_b64 v[39:42], v4 offset0:62 offset1:140
	v_add_nc_u32_e32 v69, 0, v69
	v_lshlrev_b32_e32 v72, 3, v0
	v_lshlrev_b32_e32 v0, 1, v71
	v_lshlrev_b64 v[33:34], 3, v[33:34]
	v_lshrrev_b32_e32 v73, 21, v58
	v_and_b32_e32 v74, 0xffff, v59
	v_add3_u32 v69, v69, v72, v38
	v_and_b32_e32 v72, 0xffff, v57
	v_lshlrev_b64 v[57:58], 3, v[0:1]
	v_add_co_u32 v59, s0, s8, v33
	v_mad_u32_u24 v75, 0x340, v60, 0
	v_add_co_ci_u32_e64 v60, s0, s9, v34, s0
	v_lshrrev_b16 v35, 13, v35
	v_add_co_u32 v33, s0, s8, v57
	v_add_co_ci_u32_e64 v34, s0, s9, v58, s0
	v_mad_u32_u24 v74, 0x340, v74, 0
	v_mul_lo_u16 v0, 0x68, v35
	v_mad_u32_u24 v72, 0x340, v72, 0
	v_mad_u32_u24 v61, 0x340, v61, 0
	;; [unrolled: 1-line block ×3, first 2 shown]
	v_add3_u32 v57, v74, v65, v38
	v_sub_nc_u16 v0, v31, v0
	v_add3_u32 v31, v72, v64, v38
	v_add3_u32 v64, v75, v66, v38
	;; [unrolled: 1-line block ×3, first 2 shown]
	v_mul_lo_u16 v73, 0x68, v73
	s_waitcnt vmcnt(0) lgkmcnt(0)
	s_barrier
	buffer_gl0_inv
	v_mov_b32_e32 v70, 4
	v_add3_u32 v62, v62, v68, v38
	v_cmp_lt_u32_e64 s0, 25, v24
	v_mul_f32_e32 v58, v23, v13
	v_mul_f32_e32 v23, v23, v12
	v_fma_f32 v12, v22, v12, -v58
	v_fmac_f32_e32 v23, v22, v13
	v_mul_f32_e32 v22, v44, v15
	v_mul_f32_e32 v44, v44, v14
	;; [unrolled: 1-line block ×10, first 2 shown]
	v_fma_f32 v22, v43, v14, -v22
	v_fmac_f32_e32 v44, v43, v15
	v_sub_f32_e32 v13, v54, v23
	v_fma_f32 v23, v45, v16, -v58
	v_fmac_f32_e32 v46, v45, v17
	v_sub_f32_e32 v12, v53, v12
	v_fma_f32 v39, v47, v39, -v65
	v_fmac_f32_e32 v48, v47, v40
	v_fma_f32 v41, v49, v41, -v66
	v_fmac_f32_e32 v50, v49, v42
	v_fma_f32 v43, v55, v51, -v67
	v_fmac_f32_e32 v52, v56, v51
	v_sub_f32_e32 v16, v6, v22
	v_sub_f32_e32 v17, v7, v44
	;; [unrolled: 1-line block ×4, first 2 shown]
	v_fma_f32 v14, v53, 2.0, -v12
	v_fma_f32 v15, v54, 2.0, -v13
	v_sub_f32_e32 v39, v18, v39
	v_sub_f32_e32 v40, v19, v48
	;; [unrolled: 1-line block ×6, first 2 shown]
	v_fma_f32 v6, v6, 2.0, -v16
	v_fma_f32 v7, v7, 2.0, -v17
	;; [unrolled: 1-line block ×4, first 2 shown]
	ds_write2_b64 v69, v[14:15], v[12:13] offset1:52
	v_fma_f32 v12, v18, 2.0, -v39
	v_fma_f32 v13, v19, 2.0, -v40
	;; [unrolled: 1-line block ×6, first 2 shown]
	ds_write2_b64 v31, v[6:7], v[16:17] offset1:52
	ds_write2_b64 v57, v[8:9], v[22:23] offset1:52
	;; [unrolled: 1-line block ×5, first 2 shown]
	v_sub_nc_u16 v39, v29, v73
	s_waitcnt lgkmcnt(0)
	s_barrier
	buffer_gl0_inv
	s_clause 0x1
	global_load_dwordx4 v[6:9], v[59:60], off offset:816
	global_load_dwordx4 v[10:13], v[33:34], off offset:816
	v_lshlrev_b32_sdwa v14, v70, v0 dst_sel:DWORD dst_unused:UNUSED_PAD src0_sel:DWORD src1_sel:BYTE_0
	v_lshlrev_b32_sdwa v18, v70, v39 dst_sel:DWORD dst_unused:UNUSED_PAD src0_sel:DWORD src1_sel:WORD_0
	s_clause 0x1
	global_load_dwordx4 v[14:17], v14, s[8:9] offset:816
	global_load_dwordx4 v[18:21], v18, s[8:9] offset:816
	v_cndmask_b32_e64 v22, 0, 0x9c0, s0
	v_mov_b32_e32 v29, v1
	v_mov_b32_e32 v33, v1
	;; [unrolled: 1-line block ×3, first 2 shown]
	v_lshlrev_b32_e32 v40, 3, v71
	v_add_nc_u32_e32 v34, 0, v22
	v_lshlrev_b64 v[22:23], 3, v[28:29]
	v_lshlrev_b64 v[28:29], 3, v[32:33]
	;; [unrolled: 1-line block ×3, first 2 shown]
	v_and_b32_e32 v32, 0xffff, v35
	v_add3_u32 v57, v34, v40, v38
	v_lshlrev_b32_sdwa v50, v63, v39 dst_sel:DWORD dst_unused:UNUSED_PAD src0_sel:DWORD src1_sel:WORD_0
	v_add_co_u32 v47, s0, s8, v22
	v_add_co_ci_u32_e64 v48, s0, s9, v23, s0
	v_add_co_u32 v58, s0, s8, v28
	v_add_co_ci_u32_e64 v61, s0, s9, v29, s0
	;; [unrolled: 2-line block ×3, first 2 shown]
	v_mad_u32_u24 v49, 0x9c0, v32, 0
	ds_read2_b64 v[28:31], v5 offset0:106 offset1:184
	ds_read2_b64 v[32:35], v3 offset0:34 offset1:112
	;; [unrolled: 1-line block ×4, first 2 shown]
	ds_read_b64 v[53:54], v37
	ds_read_b64 v[55:56], v25 offset:6864
	v_add_co_u32 v22, s0, 0x800, v59
	v_lshlrev_b32_sdwa v0, v63, v0 dst_sel:DWORD dst_unused:UNUSED_PAD src0_sel:DWORD src1_sel:BYTE_0
	v_add_co_ci_u32_e64 v23, s0, 0, v60, s0
	v_add_co_u32 v51, s0, 0x800, v47
	v_add3_u32 v59, 0, v50, v38
	v_add_co_ci_u32_e64 v52, s0, 0, v48, s0
	v_add3_u32 v0, v49, v0, v38
	ds_read2_b64 v[47:50], v25 offset0:78 offset1:156
	v_add_nc_u32_e32 v38, 0x1000, v59
	s_waitcnt vmcnt(0) lgkmcnt(0)
	s_barrier
	buffer_gl0_inv
	v_mul_f32_e32 v60, v7, v31
	v_mul_f32_e32 v7, v7, v30
	;; [unrolled: 1-line block ×16, first 2 shown]
	v_fma_f32 v30, v6, v30, -v60
	v_fmac_f32_e32 v7, v6, v31
	v_fma_f32 v6, v8, v34, -v63
	v_fmac_f32_e32 v9, v8, v35
	;; [unrolled: 2-line block ×8, first 2 shown]
	v_add_f32_e32 v31, v30, v6
	v_add_f32_e32 v34, v7, v9
	;; [unrolled: 1-line block ×4, first 2 shown]
	v_sub_f32_e32 v40, v11, v13
	v_add_f32_e32 v41, v48, v11
	v_add_f32_e32 v11, v11, v13
	;; [unrolled: 1-line block ×3, first 2 shown]
	v_sub_f32_e32 v45, v15, v17
	v_add_f32_e32 v46, v50, v15
	v_add_f32_e32 v15, v15, v17
	;; [unrolled: 1-line block ×3, first 2 shown]
	v_sub_f32_e32 v32, v7, v9
	v_add_f32_e32 v33, v54, v7
	v_sub_f32_e32 v30, v30, v6
	v_add_f32_e32 v60, v16, v18
	;; [unrolled: 2-line block ×3, first 2 shown]
	v_add_f32_e32 v19, v19, v21
	v_fma_f32 v53, -0.5, v31, v53
	v_fmac_f32_e32 v54, -0.5, v34
	v_sub_f32_e32 v42, v8, v10
	v_add_f32_e32 v43, v49, v12
	v_add_f32_e32 v56, v28, v16
	;; [unrolled: 1-line block ×3, first 2 shown]
	v_fma_f32 v10, -0.5, v39, v47
	v_fma_f32 v11, -0.5, v11, v48
	v_sub_f32_e32 v55, v12, v14
	v_fma_f32 v49, -0.5, v44, v49
	v_fmac_f32_e32 v50, -0.5, v15
	v_sub_f32_e32 v66, v16, v18
	v_add_f32_e32 v6, v20, v6
	v_add_f32_e32 v7, v33, v9
	;; [unrolled: 1-line block ×4, first 2 shown]
	v_fma_f32 v28, -0.5, v60, v28
	v_fmac_f32_e32 v29, -0.5, v19
	v_fmamk_f32 v16, v32, 0x3f5db3d7, v53
	v_fmamk_f32 v17, v30, 0xbf5db3d7, v54
	v_fmac_f32_e32 v53, 0xbf5db3d7, v32
	v_fmac_f32_e32 v54, 0x3f5db3d7, v30
	v_add_f32_e32 v12, v43, v14
	v_add_f32_e32 v14, v56, v18
	v_fmamk_f32 v18, v40, 0x3f5db3d7, v10
	v_fmamk_f32 v19, v42, 0xbf5db3d7, v11
	v_fmac_f32_e32 v10, 0xbf5db3d7, v40
	v_fmac_f32_e32 v11, 0x3f5db3d7, v42
	v_add_f32_e32 v15, v65, v21
	v_fmamk_f32 v20, v45, 0x3f5db3d7, v49
	v_fmamk_f32 v21, v55, 0xbf5db3d7, v50
	v_fmac_f32_e32 v49, 0xbf5db3d7, v45
	v_fmac_f32_e32 v50, 0x3f5db3d7, v55
	v_fmamk_f32 v30, v63, 0x3f5db3d7, v28
	v_fmac_f32_e32 v28, 0xbf5db3d7, v63
	v_fmamk_f32 v31, v66, 0xbf5db3d7, v29
	v_fmac_f32_e32 v29, 0x3f5db3d7, v66
	ds_write2_b64 v25, v[6:7], v[16:17] offset1:104
	ds_write_b64 v25, v[53:54] offset:1664
	ds_write2_b64 v57, v[8:9], v[18:19] offset1:104
	ds_write_b64 v57, v[10:11] offset:1664
	;; [unrolled: 2-line block ×3, first 2 shown]
	ds_write2_b64 v38, v[14:15], v[30:31] offset0:112 offset1:216
	ds_write_b64 v59, v[28:29] offset:6656
	v_add_co_u32 v14, s0, 0x800, v58
	v_add_co_ci_u32_e64 v15, s0, 0, v61, s0
	v_add_co_u32 v18, s0, 0x800, v62
	v_add_co_ci_u32_e64 v19, s0, 0, v64, s0
	s_waitcnt lgkmcnt(0)
	s_barrier
	buffer_gl0_inv
	s_clause 0x3
	global_load_dwordx4 v[6:9], v[22:23], off offset:432
	global_load_dwordx4 v[10:13], v[51:52], off offset:432
	;; [unrolled: 1-line block ×4, first 2 shown]
	ds_read2_b64 v[28:31], v5 offset0:106 offset1:184
	ds_read2_b64 v[32:35], v3 offset0:34 offset1:112
	ds_read2_b64 v[38:41], v2 offset0:134 offset1:212
	ds_read2_b64 v[42:45], v4 offset0:62 offset1:140
	ds_read_b64 v[4:5], v37
	ds_read_b64 v[22:23], v25 offset:6864
	ds_read2_b64 v[46:49], v25 offset0:78 offset1:156
	v_add_nc_u32_e32 v0, 0x1800, v25
	s_waitcnt vmcnt(0) lgkmcnt(0)
	s_barrier
	buffer_gl0_inv
	v_mul_f32_e32 v37, v7, v31
	v_mul_f32_e32 v7, v7, v30
	;; [unrolled: 1-line block ×16, first 2 shown]
	v_fma_f32 v30, v6, v30, -v37
	v_fmac_f32_e32 v7, v6, v31
	v_fma_f32 v6, v8, v34, -v50
	v_fmac_f32_e32 v9, v8, v35
	;; [unrolled: 2-line block ×8, first 2 shown]
	v_add_f32_e32 v22, v30, v6
	v_add_f32_e32 v32, v7, v9
	;; [unrolled: 1-line block ×4, first 2 shown]
	v_sub_f32_e32 v35, v11, v13
	v_add_f32_e32 v37, v47, v11
	v_add_f32_e32 v11, v11, v13
	;; [unrolled: 1-line block ×3, first 2 shown]
	v_sub_f32_e32 v41, v15, v17
	v_add_f32_e32 v42, v49, v15
	v_add_f32_e32 v15, v15, v17
	;; [unrolled: 1-line block ×5, first 2 shown]
	v_sub_f32_e32 v50, v19, v21
	v_add_f32_e32 v51, v29, v19
	v_add_f32_e32 v19, v19, v21
	;; [unrolled: 1-line block ×4, first 2 shown]
	v_sub_f32_e32 v23, v7, v9
	v_sub_f32_e32 v30, v30, v6
	v_fma_f32 v4, -0.5, v22, v4
	v_fmac_f32_e32 v5, -0.5, v32
	v_sub_f32_e32 v38, v8, v10
	v_sub_f32_e32 v43, v12, v14
	v_add_f32_e32 v8, v33, v10
	v_fma_f32 v10, -0.5, v34, v46
	v_fma_f32 v11, -0.5, v11, v47
	;; [unrolled: 1-line block ×3, first 2 shown]
	v_fmac_f32_e32 v49, -0.5, v15
	v_sub_f32_e32 v52, v16, v18
	v_add_f32_e32 v6, v20, v6
	v_add_f32_e32 v7, v31, v9
	;; [unrolled: 1-line block ×3, first 2 shown]
	v_fma_f32 v28, -0.5, v45, v28
	v_fmac_f32_e32 v29, -0.5, v19
	v_add_f32_e32 v12, v39, v14
	v_add_f32_e32 v13, v42, v17
	;; [unrolled: 1-line block ×4, first 2 shown]
	v_fmamk_f32 v16, v23, 0x3f5db3d7, v4
	v_fmamk_f32 v17, v30, 0xbf5db3d7, v5
	v_fmac_f32_e32 v4, 0xbf5db3d7, v23
	v_fmac_f32_e32 v5, 0x3f5db3d7, v30
	v_fmamk_f32 v18, v35, 0x3f5db3d7, v10
	v_fmamk_f32 v19, v38, 0xbf5db3d7, v11
	;; [unrolled: 1-line block ×4, first 2 shown]
	v_fmac_f32_e32 v10, 0xbf5db3d7, v35
	v_fmac_f32_e32 v11, 0x3f5db3d7, v38
	;; [unrolled: 1-line block ×4, first 2 shown]
	v_fmamk_f32 v22, v50, 0x3f5db3d7, v28
	v_fmac_f32_e32 v28, 0xbf5db3d7, v50
	v_fmamk_f32 v23, v52, 0xbf5db3d7, v29
	v_fmac_f32_e32 v29, 0x3f5db3d7, v52
	ds_write2_b64 v25, v[6:7], v[8:9] offset1:78
	ds_write2_b64 v25, v[12:13], v[14:15] offset0:156 offset1:234
	ds_write_b64 v25, v[16:17] offset:2496
	ds_write_b64 v25, v[4:5] offset:4992
	ds_write2_b64 v2, v[18:19], v[20:21] offset0:134 offset1:212
	ds_write2_b64 v3, v[22:23], v[10:11] offset0:34 offset1:190
	;; [unrolled: 1-line block ×3, first 2 shown]
	s_waitcnt lgkmcnt(0)
	s_barrier
	buffer_gl0_inv
	s_and_saveexec_b32 s0, vcc_lo
	s_cbranch_execz .LBB0_22
; %bb.21:
	v_lshl_add_u32 v18, v24, 3, v36
	v_mov_b32_e32 v25, v1
	v_add_nc_u32_e32 v0, 0x4e, v24
	v_add_co_u32 v20, vcc_lo, s2, v26
	ds_read2_b64 v[2:5], v18 offset1:78
	v_lshlrev_b64 v[10:11], 3, v[24:25]
	v_lshlrev_b64 v[12:13], 3, v[0:1]
	v_add_nc_u32_e32 v0, 0x9c, v24
	v_add_co_ci_u32_e32 v21, vcc_lo, s3, v27, vcc_lo
	ds_read2_b64 v[6:9], v18 offset0:156 offset1:234
	v_add_co_u32 v10, vcc_lo, v20, v10
	v_lshlrev_b64 v[14:15], 3, v[0:1]
	v_add_nc_u32_e32 v0, 0xea, v24
	v_add_co_ci_u32_e32 v11, vcc_lo, v21, v11, vcc_lo
	v_add_co_u32 v12, vcc_lo, v20, v12
	v_add_co_ci_u32_e32 v13, vcc_lo, v21, v13, vcc_lo
	v_lshlrev_b64 v[16:17], 3, v[0:1]
	v_add_nc_u32_e32 v0, 0x138, v24
	s_waitcnt lgkmcnt(1)
	global_store_dwordx2 v[10:11], v[2:3], off
	global_store_dwordx2 v[12:13], v[4:5], off
	v_add_co_u32 v2, vcc_lo, v20, v14
	v_add_co_ci_u32_e32 v3, vcc_lo, v21, v15, vcc_lo
	v_add_co_u32 v4, vcc_lo, v20, v16
	v_add_co_ci_u32_e32 v5, vcc_lo, v21, v17, vcc_lo
	v_add_nc_u32_e32 v12, 0x800, v18
	v_add_nc_u32_e32 v14, 0xc00, v18
	v_lshlrev_b64 v[10:11], 3, v[0:1]
	v_add_nc_u32_e32 v0, 0x186, v24
	s_waitcnt lgkmcnt(0)
	global_store_dwordx2 v[2:3], v[6:7], off
	global_store_dwordx2 v[4:5], v[8:9], off
	ds_read2_b64 v[2:5], v12 offset0:56 offset1:134
	ds_read2_b64 v[6:9], v14 offset0:84 offset1:162
	v_lshlrev_b64 v[12:13], 3, v[0:1]
	v_add_nc_u32_e32 v0, 0x1d4, v24
	v_add_co_u32 v10, vcc_lo, v20, v10
	v_add_co_ci_u32_e32 v11, vcc_lo, v21, v11, vcc_lo
	v_lshlrev_b64 v[14:15], 3, v[0:1]
	v_add_nc_u32_e32 v0, 0x222, v24
	v_add_co_u32 v12, vcc_lo, v20, v12
	v_add_co_ci_u32_e32 v13, vcc_lo, v21, v13, vcc_lo
	v_add_co_u32 v14, vcc_lo, v20, v14
	v_lshlrev_b64 v[16:17], 3, v[0:1]
	v_add_nc_u32_e32 v0, 0x270, v24
	v_add_co_ci_u32_e32 v15, vcc_lo, v21, v15, vcc_lo
	s_waitcnt lgkmcnt(1)
	global_store_dwordx2 v[10:11], v[2:3], off
	global_store_dwordx2 v[12:13], v[4:5], off
	s_waitcnt lgkmcnt(0)
	global_store_dwordx2 v[14:15], v[6:7], off
	v_add_nc_u32_e32 v2, 0x1000, v18
	v_lshlrev_b64 v[6:7], 3, v[0:1]
	v_add_nc_u32_e32 v0, 0x2be, v24
	v_add_nc_u32_e32 v10, 0x1800, v18
	v_add_co_u32 v14, vcc_lo, v20, v16
	v_add_co_ci_u32_e32 v15, vcc_lo, v21, v17, vcc_lo
	ds_read2_b64 v[2:5], v2 offset0:112 offset1:190
	v_lshlrev_b64 v[16:17], 3, v[0:1]
	v_add_nc_u32_e32 v0, 0x30c, v24
	ds_read2_b64 v[10:13], v10 offset0:12 offset1:90
	v_add_co_u32 v6, vcc_lo, v20, v6
	v_add_co_ci_u32_e32 v7, vcc_lo, v21, v7, vcc_lo
	v_lshlrev_b64 v[18:19], 3, v[0:1]
	v_add_nc_u32_e32 v0, 0x35a, v24
	v_add_co_u32 v16, vcc_lo, v20, v16
	v_add_co_ci_u32_e32 v17, vcc_lo, v21, v17, vcc_lo
	v_lshlrev_b64 v[0:1], 3, v[0:1]
	v_add_co_u32 v18, vcc_lo, v20, v18
	v_add_co_ci_u32_e32 v19, vcc_lo, v21, v19, vcc_lo
	v_add_co_u32 v0, vcc_lo, v20, v0
	v_add_co_ci_u32_e32 v1, vcc_lo, v21, v1, vcc_lo
	global_store_dwordx2 v[14:15], v[8:9], off
	s_waitcnt lgkmcnt(1)
	global_store_dwordx2 v[6:7], v[2:3], off
	global_store_dwordx2 v[16:17], v[4:5], off
	s_waitcnt lgkmcnt(0)
	global_store_dwordx2 v[18:19], v[10:11], off
	global_store_dwordx2 v[0:1], v[12:13], off
.LBB0_22:
	s_endpgm
	.section	.rodata,"a",@progbits
	.p2align	6, 0x0
	.amdhsa_kernel fft_rtc_fwd_len936_factors_2_2_13_2_3_3_wgs_234_tpt_78_halfLds_sp_ip_CI_unitstride_sbrr_C2R_dirReg
		.amdhsa_group_segment_fixed_size 0
		.amdhsa_private_segment_fixed_size 0
		.amdhsa_kernarg_size 88
		.amdhsa_user_sgpr_count 6
		.amdhsa_user_sgpr_private_segment_buffer 1
		.amdhsa_user_sgpr_dispatch_ptr 0
		.amdhsa_user_sgpr_queue_ptr 0
		.amdhsa_user_sgpr_kernarg_segment_ptr 1
		.amdhsa_user_sgpr_dispatch_id 0
		.amdhsa_user_sgpr_flat_scratch_init 0
		.amdhsa_user_sgpr_private_segment_size 0
		.amdhsa_wavefront_size32 1
		.amdhsa_uses_dynamic_stack 0
		.amdhsa_system_sgpr_private_segment_wavefront_offset 0
		.amdhsa_system_sgpr_workgroup_id_x 1
		.amdhsa_system_sgpr_workgroup_id_y 0
		.amdhsa_system_sgpr_workgroup_id_z 0
		.amdhsa_system_sgpr_workgroup_info 0
		.amdhsa_system_vgpr_workitem_id 0
		.amdhsa_next_free_vgpr 139
		.amdhsa_next_free_sgpr 21
		.amdhsa_reserve_vcc 1
		.amdhsa_reserve_flat_scratch 0
		.amdhsa_float_round_mode_32 0
		.amdhsa_float_round_mode_16_64 0
		.amdhsa_float_denorm_mode_32 3
		.amdhsa_float_denorm_mode_16_64 3
		.amdhsa_dx10_clamp 1
		.amdhsa_ieee_mode 1
		.amdhsa_fp16_overflow 0
		.amdhsa_workgroup_processor_mode 1
		.amdhsa_memory_ordered 1
		.amdhsa_forward_progress 0
		.amdhsa_shared_vgpr_count 0
		.amdhsa_exception_fp_ieee_invalid_op 0
		.amdhsa_exception_fp_denorm_src 0
		.amdhsa_exception_fp_ieee_div_zero 0
		.amdhsa_exception_fp_ieee_overflow 0
		.amdhsa_exception_fp_ieee_underflow 0
		.amdhsa_exception_fp_ieee_inexact 0
		.amdhsa_exception_int_div_zero 0
	.end_amdhsa_kernel
	.text
.Lfunc_end0:
	.size	fft_rtc_fwd_len936_factors_2_2_13_2_3_3_wgs_234_tpt_78_halfLds_sp_ip_CI_unitstride_sbrr_C2R_dirReg, .Lfunc_end0-fft_rtc_fwd_len936_factors_2_2_13_2_3_3_wgs_234_tpt_78_halfLds_sp_ip_CI_unitstride_sbrr_C2R_dirReg
                                        ; -- End function
	.section	.AMDGPU.csdata,"",@progbits
; Kernel info:
; codeLenInByte = 10040
; NumSgprs: 23
; NumVgprs: 139
; ScratchSize: 0
; MemoryBound: 0
; FloatMode: 240
; IeeeMode: 1
; LDSByteSize: 0 bytes/workgroup (compile time only)
; SGPRBlocks: 2
; VGPRBlocks: 17
; NumSGPRsForWavesPerEU: 23
; NumVGPRsForWavesPerEU: 139
; Occupancy: 7
; WaveLimiterHint : 1
; COMPUTE_PGM_RSRC2:SCRATCH_EN: 0
; COMPUTE_PGM_RSRC2:USER_SGPR: 6
; COMPUTE_PGM_RSRC2:TRAP_HANDLER: 0
; COMPUTE_PGM_RSRC2:TGID_X_EN: 1
; COMPUTE_PGM_RSRC2:TGID_Y_EN: 0
; COMPUTE_PGM_RSRC2:TGID_Z_EN: 0
; COMPUTE_PGM_RSRC2:TIDIG_COMP_CNT: 0
	.text
	.p2alignl 6, 3214868480
	.fill 48, 4, 3214868480
	.type	__hip_cuid_723c065ff47b5628,@object ; @__hip_cuid_723c065ff47b5628
	.section	.bss,"aw",@nobits
	.globl	__hip_cuid_723c065ff47b5628
__hip_cuid_723c065ff47b5628:
	.byte	0                               ; 0x0
	.size	__hip_cuid_723c065ff47b5628, 1

	.ident	"AMD clang version 19.0.0git (https://github.com/RadeonOpenCompute/llvm-project roc-6.4.0 25133 c7fe45cf4b819c5991fe208aaa96edf142730f1d)"
	.section	".note.GNU-stack","",@progbits
	.addrsig
	.addrsig_sym __hip_cuid_723c065ff47b5628
	.amdgpu_metadata
---
amdhsa.kernels:
  - .args:
      - .actual_access:  read_only
        .address_space:  global
        .offset:         0
        .size:           8
        .value_kind:     global_buffer
      - .offset:         8
        .size:           8
        .value_kind:     by_value
      - .actual_access:  read_only
        .address_space:  global
        .offset:         16
        .size:           8
        .value_kind:     global_buffer
      - .actual_access:  read_only
        .address_space:  global
        .offset:         24
        .size:           8
        .value_kind:     global_buffer
      - .offset:         32
        .size:           8
        .value_kind:     by_value
      - .actual_access:  read_only
        .address_space:  global
        .offset:         40
        .size:           8
        .value_kind:     global_buffer
      - .actual_access:  read_only
        .address_space:  global
        .offset:         48
        .size:           8
        .value_kind:     global_buffer
      - .offset:         56
        .size:           4
        .value_kind:     by_value
      - .actual_access:  read_only
        .address_space:  global
        .offset:         64
        .size:           8
        .value_kind:     global_buffer
      - .actual_access:  read_only
        .address_space:  global
        .offset:         72
        .size:           8
        .value_kind:     global_buffer
      - .address_space:  global
        .offset:         80
        .size:           8
        .value_kind:     global_buffer
    .group_segment_fixed_size: 0
    .kernarg_segment_align: 8
    .kernarg_segment_size: 88
    .language:       OpenCL C
    .language_version:
      - 2
      - 0
    .max_flat_workgroup_size: 234
    .name:           fft_rtc_fwd_len936_factors_2_2_13_2_3_3_wgs_234_tpt_78_halfLds_sp_ip_CI_unitstride_sbrr_C2R_dirReg
    .private_segment_fixed_size: 0
    .sgpr_count:     23
    .sgpr_spill_count: 0
    .symbol:         fft_rtc_fwd_len936_factors_2_2_13_2_3_3_wgs_234_tpt_78_halfLds_sp_ip_CI_unitstride_sbrr_C2R_dirReg.kd
    .uniform_work_group_size: 1
    .uses_dynamic_stack: false
    .vgpr_count:     139
    .vgpr_spill_count: 0
    .wavefront_size: 32
    .workgroup_processor_mode: 1
amdhsa.target:   amdgcn-amd-amdhsa--gfx1030
amdhsa.version:
  - 1
  - 2
...

	.end_amdgpu_metadata
